;; amdgpu-corpus repo=ROCm/rocFFT kind=compiled arch=gfx1030 opt=O3
	.text
	.amdgcn_target "amdgcn-amd-amdhsa--gfx1030"
	.amdhsa_code_object_version 6
	.protected	fft_rtc_fwd_len1287_factors_3_13_3_11_wgs_117_tpt_117_sp_op_CI_CI_unitstride_sbrr_dirReg ; -- Begin function fft_rtc_fwd_len1287_factors_3_13_3_11_wgs_117_tpt_117_sp_op_CI_CI_unitstride_sbrr_dirReg
	.globl	fft_rtc_fwd_len1287_factors_3_13_3_11_wgs_117_tpt_117_sp_op_CI_CI_unitstride_sbrr_dirReg
	.p2align	8
	.type	fft_rtc_fwd_len1287_factors_3_13_3_11_wgs_117_tpt_117_sp_op_CI_CI_unitstride_sbrr_dirReg,@function
fft_rtc_fwd_len1287_factors_3_13_3_11_wgs_117_tpt_117_sp_op_CI_CI_unitstride_sbrr_dirReg: ; @fft_rtc_fwd_len1287_factors_3_13_3_11_wgs_117_tpt_117_sp_op_CI_CI_unitstride_sbrr_dirReg
; %bb.0:
	s_clause 0x2
	s_load_dwordx4 s[12:15], s[4:5], 0x0
	s_load_dwordx4 s[8:11], s[4:5], 0x58
	;; [unrolled: 1-line block ×3, first 2 shown]
	v_mul_u32_u24_e32 v1, 0x231, v0
	v_mov_b32_e32 v3, 0
	v_add_nc_u32_sdwa v5, s6, v1 dst_sel:DWORD dst_unused:UNUSED_PAD src0_sel:DWORD src1_sel:WORD_1
	v_mov_b32_e32 v1, 0
	v_mov_b32_e32 v6, v3
	v_mov_b32_e32 v2, 0
	s_waitcnt lgkmcnt(0)
	v_cmp_lt_u64_e64 s0, s[14:15], 2
	s_and_b32 vcc_lo, exec_lo, s0
	s_cbranch_vccnz .LBB0_8
; %bb.1:
	s_load_dwordx2 s[0:1], s[4:5], 0x10
	v_mov_b32_e32 v1, 0
	v_mov_b32_e32 v2, 0
	s_add_u32 s2, s18, 8
	s_addc_u32 s3, s19, 0
	s_add_u32 s6, s16, 8
	s_addc_u32 s7, s17, 0
	v_mov_b32_e32 v25, v2
	v_mov_b32_e32 v24, v1
	s_mov_b64 s[22:23], 1
	s_waitcnt lgkmcnt(0)
	s_add_u32 s20, s0, 8
	s_addc_u32 s21, s1, 0
.LBB0_2:                                ; =>This Inner Loop Header: Depth=1
	s_load_dwordx2 s[24:25], s[20:21], 0x0
                                        ; implicit-def: $vgpr27_vgpr28
	s_mov_b32 s0, exec_lo
	s_waitcnt lgkmcnt(0)
	v_or_b32_e32 v4, s25, v6
	v_cmpx_ne_u64_e32 0, v[3:4]
	s_xor_b32 s1, exec_lo, s0
	s_cbranch_execz .LBB0_4
; %bb.3:                                ;   in Loop: Header=BB0_2 Depth=1
	v_cvt_f32_u32_e32 v4, s24
	v_cvt_f32_u32_e32 v7, s25
	s_sub_u32 s0, 0, s24
	s_subb_u32 s26, 0, s25
	v_fmac_f32_e32 v4, 0x4f800000, v7
	v_rcp_f32_e32 v4, v4
	v_mul_f32_e32 v4, 0x5f7ffffc, v4
	v_mul_f32_e32 v7, 0x2f800000, v4
	v_trunc_f32_e32 v7, v7
	v_fmac_f32_e32 v4, 0xcf800000, v7
	v_cvt_u32_f32_e32 v7, v7
	v_cvt_u32_f32_e32 v4, v4
	v_mul_lo_u32 v8, s0, v7
	v_mul_hi_u32 v9, s0, v4
	v_mul_lo_u32 v10, s26, v4
	v_add_nc_u32_e32 v8, v9, v8
	v_mul_lo_u32 v9, s0, v4
	v_add_nc_u32_e32 v8, v8, v10
	v_mul_hi_u32 v10, v4, v9
	v_mul_lo_u32 v11, v4, v8
	v_mul_hi_u32 v12, v4, v8
	v_mul_hi_u32 v13, v7, v9
	v_mul_lo_u32 v9, v7, v9
	v_mul_hi_u32 v14, v7, v8
	v_mul_lo_u32 v8, v7, v8
	v_add_co_u32 v10, vcc_lo, v10, v11
	v_add_co_ci_u32_e32 v11, vcc_lo, 0, v12, vcc_lo
	v_add_co_u32 v9, vcc_lo, v10, v9
	v_add_co_ci_u32_e32 v9, vcc_lo, v11, v13, vcc_lo
	v_add_co_ci_u32_e32 v10, vcc_lo, 0, v14, vcc_lo
	v_add_co_u32 v8, vcc_lo, v9, v8
	v_add_co_ci_u32_e32 v9, vcc_lo, 0, v10, vcc_lo
	v_add_co_u32 v4, vcc_lo, v4, v8
	v_add_co_ci_u32_e32 v7, vcc_lo, v7, v9, vcc_lo
	v_mul_hi_u32 v8, s0, v4
	v_mul_lo_u32 v10, s26, v4
	v_mul_lo_u32 v9, s0, v7
	v_add_nc_u32_e32 v8, v8, v9
	v_mul_lo_u32 v9, s0, v4
	v_add_nc_u32_e32 v8, v8, v10
	v_mul_hi_u32 v10, v4, v9
	v_mul_lo_u32 v11, v4, v8
	v_mul_hi_u32 v12, v4, v8
	v_mul_hi_u32 v13, v7, v9
	v_mul_lo_u32 v9, v7, v9
	v_mul_hi_u32 v14, v7, v8
	v_mul_lo_u32 v8, v7, v8
	v_add_co_u32 v10, vcc_lo, v10, v11
	v_add_co_ci_u32_e32 v11, vcc_lo, 0, v12, vcc_lo
	v_add_co_u32 v9, vcc_lo, v10, v9
	v_add_co_ci_u32_e32 v9, vcc_lo, v11, v13, vcc_lo
	v_add_co_ci_u32_e32 v10, vcc_lo, 0, v14, vcc_lo
	v_add_co_u32 v8, vcc_lo, v9, v8
	v_add_co_ci_u32_e32 v9, vcc_lo, 0, v10, vcc_lo
	v_add_co_u32 v4, vcc_lo, v4, v8
	v_add_co_ci_u32_e32 v11, vcc_lo, v7, v9, vcc_lo
	v_mul_hi_u32 v13, v5, v4
	v_mad_u64_u32 v[9:10], null, v6, v4, 0
	v_mad_u64_u32 v[7:8], null, v5, v11, 0
	;; [unrolled: 1-line block ×3, first 2 shown]
	v_add_co_u32 v4, vcc_lo, v13, v7
	v_add_co_ci_u32_e32 v7, vcc_lo, 0, v8, vcc_lo
	v_add_co_u32 v4, vcc_lo, v4, v9
	v_add_co_ci_u32_e32 v4, vcc_lo, v7, v10, vcc_lo
	v_add_co_ci_u32_e32 v7, vcc_lo, 0, v12, vcc_lo
	v_add_co_u32 v4, vcc_lo, v4, v11
	v_add_co_ci_u32_e32 v9, vcc_lo, 0, v7, vcc_lo
	v_mul_lo_u32 v10, s25, v4
	v_mad_u64_u32 v[7:8], null, s24, v4, 0
	v_mul_lo_u32 v11, s24, v9
	v_sub_co_u32 v7, vcc_lo, v5, v7
	v_add3_u32 v8, v8, v11, v10
	v_sub_nc_u32_e32 v10, v6, v8
	v_subrev_co_ci_u32_e64 v10, s0, s25, v10, vcc_lo
	v_add_co_u32 v11, s0, v4, 2
	v_add_co_ci_u32_e64 v12, s0, 0, v9, s0
	v_sub_co_u32 v13, s0, v7, s24
	v_sub_co_ci_u32_e32 v8, vcc_lo, v6, v8, vcc_lo
	v_subrev_co_ci_u32_e64 v10, s0, 0, v10, s0
	v_cmp_le_u32_e32 vcc_lo, s24, v13
	v_cmp_eq_u32_e64 s0, s25, v8
	v_cndmask_b32_e64 v13, 0, -1, vcc_lo
	v_cmp_le_u32_e32 vcc_lo, s25, v10
	v_cndmask_b32_e64 v14, 0, -1, vcc_lo
	v_cmp_le_u32_e32 vcc_lo, s24, v7
	;; [unrolled: 2-line block ×3, first 2 shown]
	v_cndmask_b32_e64 v15, 0, -1, vcc_lo
	v_cmp_eq_u32_e32 vcc_lo, s25, v10
	v_cndmask_b32_e64 v7, v15, v7, s0
	v_cndmask_b32_e32 v10, v14, v13, vcc_lo
	v_add_co_u32 v13, vcc_lo, v4, 1
	v_add_co_ci_u32_e32 v14, vcc_lo, 0, v9, vcc_lo
	v_cmp_ne_u32_e32 vcc_lo, 0, v10
	v_cndmask_b32_e32 v8, v14, v12, vcc_lo
	v_cndmask_b32_e32 v10, v13, v11, vcc_lo
	v_cmp_ne_u32_e32 vcc_lo, 0, v7
	v_cndmask_b32_e32 v28, v9, v8, vcc_lo
	v_cndmask_b32_e32 v27, v4, v10, vcc_lo
.LBB0_4:                                ;   in Loop: Header=BB0_2 Depth=1
	s_andn2_saveexec_b32 s0, s1
	s_cbranch_execz .LBB0_6
; %bb.5:                                ;   in Loop: Header=BB0_2 Depth=1
	v_cvt_f32_u32_e32 v4, s24
	s_sub_i32 s1, 0, s24
	v_mov_b32_e32 v28, v3
	v_rcp_iflag_f32_e32 v4, v4
	v_mul_f32_e32 v4, 0x4f7ffffe, v4
	v_cvt_u32_f32_e32 v4, v4
	v_mul_lo_u32 v7, s1, v4
	v_mul_hi_u32 v7, v4, v7
	v_add_nc_u32_e32 v4, v4, v7
	v_mul_hi_u32 v4, v5, v4
	v_mul_lo_u32 v7, v4, s24
	v_add_nc_u32_e32 v8, 1, v4
	v_sub_nc_u32_e32 v7, v5, v7
	v_subrev_nc_u32_e32 v9, s24, v7
	v_cmp_le_u32_e32 vcc_lo, s24, v7
	v_cndmask_b32_e32 v7, v7, v9, vcc_lo
	v_cndmask_b32_e32 v4, v4, v8, vcc_lo
	v_cmp_le_u32_e32 vcc_lo, s24, v7
	v_add_nc_u32_e32 v8, 1, v4
	v_cndmask_b32_e32 v27, v4, v8, vcc_lo
.LBB0_6:                                ;   in Loop: Header=BB0_2 Depth=1
	s_or_b32 exec_lo, exec_lo, s0
	v_mul_lo_u32 v4, v28, s24
	v_mul_lo_u32 v9, v27, s25
	s_load_dwordx2 s[0:1], s[6:7], 0x0
	v_mad_u64_u32 v[7:8], null, v27, s24, 0
	s_load_dwordx2 s[24:25], s[2:3], 0x0
	s_add_u32 s22, s22, 1
	s_addc_u32 s23, s23, 0
	s_add_u32 s2, s2, 8
	s_addc_u32 s3, s3, 0
	s_add_u32 s6, s6, 8
	v_add3_u32 v4, v8, v9, v4
	v_sub_co_u32 v5, vcc_lo, v5, v7
	s_addc_u32 s7, s7, 0
	s_add_u32 s20, s20, 8
	v_sub_co_ci_u32_e32 v4, vcc_lo, v6, v4, vcc_lo
	s_addc_u32 s21, s21, 0
	s_waitcnt lgkmcnt(0)
	v_mul_lo_u32 v6, s0, v4
	v_mul_lo_u32 v7, s1, v5
	v_mad_u64_u32 v[1:2], null, s0, v5, v[1:2]
	v_mul_lo_u32 v4, s24, v4
	v_mul_lo_u32 v8, s25, v5
	v_mad_u64_u32 v[24:25], null, s24, v5, v[24:25]
	v_cmp_ge_u64_e64 s0, s[22:23], s[14:15]
	v_add3_u32 v2, v7, v2, v6
	v_add3_u32 v25, v8, v25, v4
	s_and_b32 vcc_lo, exec_lo, s0
	s_cbranch_vccnz .LBB0_9
; %bb.7:                                ;   in Loop: Header=BB0_2 Depth=1
	v_mov_b32_e32 v5, v27
	v_mov_b32_e32 v6, v28
	s_branch .LBB0_2
.LBB0_8:
	v_mov_b32_e32 v25, v2
	v_mov_b32_e32 v28, v6
	;; [unrolled: 1-line block ×4, first 2 shown]
.LBB0_9:
	s_load_dwordx2 s[0:1], s[4:5], 0x28
	v_mul_hi_u32 v4, 0x2302303, v0
	s_lshl_b64 s[4:5], s[14:15], 3
                                        ; implicit-def: $sgpr6
                                        ; implicit-def: $vgpr34
	s_add_u32 s2, s18, s4
	s_addc_u32 s3, s19, s5
	s_waitcnt lgkmcnt(0)
	v_cmp_gt_u64_e32 vcc_lo, s[0:1], v[27:28]
	v_cmp_le_u64_e64 s0, s[0:1], v[27:28]
	s_and_saveexec_b32 s1, s0
	s_xor_b32 s0, exec_lo, s1
; %bb.10:
	v_mul_u32_u24_e32 v1, 0x75, v4
	s_mov_b32 s6, 0
                                        ; implicit-def: $vgpr4
	v_sub_nc_u32_e32 v34, v0, v1
                                        ; implicit-def: $vgpr0
                                        ; implicit-def: $vgpr1_vgpr2
; %bb.11:
	s_or_saveexec_b32 s1, s0
	s_load_dwordx2 s[2:3], s[2:3], 0x0
	v_mov_b32_e32 v26, s6
                                        ; implicit-def: $vgpr5
                                        ; implicit-def: $vgpr7
                                        ; implicit-def: $vgpr3
                                        ; implicit-def: $vgpr11
                                        ; implicit-def: $vgpr21
                                        ; implicit-def: $vgpr9
                                        ; implicit-def: $vgpr17
                                        ; implicit-def: $vgpr13
                                        ; implicit-def: $vgpr30
                                        ; implicit-def: $vgpr15
                                        ; implicit-def: $vgpr23
                                        ; implicit-def: $vgpr19
	s_xor_b32 exec_lo, exec_lo, s1
	s_cbranch_execz .LBB0_15
; %bb.12:
	s_add_u32 s4, s16, s4
	s_addc_u32 s5, s17, s5
	v_lshlrev_b64 v[1:2], 3, v[1:2]
	s_load_dwordx2 s[4:5], s[4:5], 0x0
                                        ; implicit-def: $vgpr14
                                        ; implicit-def: $vgpr29
	s_waitcnt lgkmcnt(0)
	v_mul_lo_u32 v3, s5, v27
	v_mul_lo_u32 v7, s4, v28
	v_mad_u64_u32 v[5:6], null, s4, v27, 0
	s_mov_b32 s4, exec_lo
	v_add3_u32 v6, v6, v7, v3
	v_mul_u32_u24_e32 v7, 0x75, v4
	v_lshlrev_b64 v[3:4], 3, v[5:6]
	v_sub_nc_u32_e32 v34, v0, v7
	v_add_co_u32 v0, s0, s8, v3
	v_add_co_ci_u32_e64 v3, s0, s9, v4, s0
	v_lshlrev_b32_e32 v4, 3, v34
	v_add_co_u32 v0, s0, v0, v1
	v_add_co_ci_u32_e64 v1, s0, v3, v2, s0
	v_add_co_u32 v12, s0, v0, v4
	v_add_co_ci_u32_e64 v13, s0, 0, v1, s0
	s_clause 0x1
	global_load_dwordx2 v[4:5], v[12:13], off
	global_load_dwordx2 v[10:11], v[12:13], off offset:936
	v_add_co_u32 v0, s0, 0x800, v12
	v_add_co_ci_u32_e64 v1, s0, 0, v13, s0
	v_add_co_u32 v30, s0, 0x1800, v12
	v_add_co_ci_u32_e64 v31, s0, 0, v13, s0
	;; [unrolled: 2-line block ×4, first 2 shown]
	s_clause 0x6
	global_load_dwordx2 v[2:3], v[30:31], off offset:720
	global_load_dwordx2 v[18:19], v[6:7], off offset:1208
	;; [unrolled: 1-line block ×7, first 2 shown]
                                        ; implicit-def: $vgpr12
	v_cmpx_gt_u32_e32 0x4e, v34
; %bb.13:
	s_clause 0x2
	global_load_dwordx2 v[14:15], v[0:1], off offset:760
	global_load_dwordx2 v[29:30], v[30:31], off offset:96
	;; [unrolled: 1-line block ×3, first 2 shown]
; %bb.14:
	s_or_b32 exec_lo, exec_lo, s4
	v_mov_b32_e32 v26, v34
.LBB0_15:
	s_or_b32 exec_lo, exec_lo, s1
	s_waitcnt vmcnt(2)
	v_add_f32_e32 v0, v6, v2
	v_add_f32_e32 v1, v4, v6
	v_sub_f32_e32 v31, v7, v3
	v_add_f32_e32 v32, v7, v3
	v_add_f32_e32 v7, v5, v7
	v_fmac_f32_e32 v4, -0.5, v0
	v_add_f32_e32 v0, v1, v2
	v_sub_f32_e32 v6, v6, v2
	v_fmac_f32_e32 v5, -0.5, v32
	v_add_f32_e32 v1, v7, v3
	v_add_f32_e32 v7, v20, v8
	v_fmamk_f32 v2, v31, 0x3f5db3d7, v4
	v_fmac_f32_e32 v4, 0xbf5db3d7, v31
	v_add_f32_e32 v31, v10, v20
	v_add_f32_e32 v32, v21, v9
	v_fmac_f32_e32 v10, -0.5, v7
	v_sub_f32_e32 v7, v21, v9
	v_add_f32_e32 v21, v11, v21
	v_fmamk_f32 v3, v6, 0xbf5db3d7, v5
	v_fmac_f32_e32 v5, 0x3f5db3d7, v6
	v_add_f32_e32 v6, v31, v8
	v_sub_f32_e32 v20, v20, v8
	v_fmamk_f32 v8, v7, 0x3f5db3d7, v10
	v_fmac_f32_e32 v10, 0xbf5db3d7, v7
	v_add_f32_e32 v7, v21, v9
	s_waitcnt vmcnt(0)
	v_add_f32_e32 v21, v22, v18
	v_fmac_f32_e32 v11, -0.5, v32
	v_add_f32_e32 v31, v18, v16
	v_add_f32_e32 v32, v23, v19
	v_sub_f32_e32 v18, v18, v22
	v_fmac_f32_e32 v16, -0.5, v21
	v_sub_f32_e32 v21, v19, v23
	v_add_f32_e32 v19, v19, v17
	v_fmamk_f32 v9, v20, 0xbf5db3d7, v11
	v_fmac_f32_e32 v11, 0x3f5db3d7, v20
	v_add_f32_e32 v20, v22, v31
	v_fmac_f32_e32 v17, -0.5, v32
	v_fmamk_f32 v22, v21, 0x3f5db3d7, v16
	v_fmac_f32_e32 v16, 0xbf5db3d7, v21
	v_add_f32_e32 v21, v23, v19
	v_add_f32_e32 v19, v12, v29
	;; [unrolled: 1-line block ×4, first 2 shown]
	v_fmamk_f32 v23, v18, 0xbf5db3d7, v17
	v_fmac_f32_e32 v17, 0x3f5db3d7, v18
	v_fmac_f32_e32 v14, -0.5, v19
	v_sub_f32_e32 v19, v30, v13
	v_add_f32_e32 v18, v12, v31
	v_add_f32_e32 v30, v30, v15
	v_fmac_f32_e32 v15, -0.5, v32
	v_sub_f32_e32 v31, v29, v12
	v_mad_u32_u24 v29, v34, 24, 0
	v_fmamk_f32 v12, v19, 0x3f5db3d7, v14
	v_fmac_f32_e32 v14, 0xbf5db3d7, v19
	v_add_f32_e32 v19, v13, v30
	v_fmamk_f32 v13, v31, 0xbf5db3d7, v15
	v_fmac_f32_e32 v15, 0x3f5db3d7, v31
	v_add_nc_u32_e32 v30, 0xaf8, v29
	v_cmp_gt_u32_e64 s0, 0x4e, v34
	v_add_nc_u32_e32 v31, 0x15f0, v29
	ds_write2_b64 v29, v[0:1], v[2:3] offset1:1
	ds_write_b64 v29, v[4:5] offset:16
	ds_write2_b64 v30, v[6:7], v[8:9] offset1:1
	ds_write_b64 v29, v[10:11] offset:2824
	;; [unrolled: 2-line block ×3, first 2 shown]
	s_and_saveexec_b32 s1, s0
	s_cbranch_execz .LBB0_17
; %bb.16:
	v_add_nc_u32_e32 v30, 0x20e8, v29
	ds_write2_b64 v30, v[18:19], v[12:13] offset1:1
	ds_write_b64 v29, v[14:15] offset:8440
.LBB0_17:
	s_or_b32 exec_lo, exec_lo, s1
	v_cmp_gt_u32_e64 s1, 0x63, v34
	s_waitcnt lgkmcnt(0)
	s_barrier
	buffer_gl0_inv
                                        ; implicit-def: $vgpr30
	s_and_saveexec_b32 s4, s1
	s_cbranch_execz .LBB0_19
; %bb.18:
	v_lshlrev_b32_e32 v0, 4, v34
	v_sub_nc_u32_e32 v20, v29, v0
	v_add_nc_u32_e32 v0, 0x1c00, v20
	v_add_nc_u32_e32 v1, 0x1800, v20
	;; [unrolled: 1-line block ×4, first 2 shown]
	ds_read2_b64 v[12:15], v0 offset0:94 offset1:193
	v_add_nc_u32_e32 v0, 0x400, v20
	ds_read2_b64 v[16:19], v1 offset0:24 offset1:123
	ds_read2_b64 v[8:11], v2 offset0:140 offset1:239
	;; [unrolled: 1-line block ×3, first 2 shown]
	ds_read2_b64 v[0:3], v20 offset1:99
	ds_read_b64 v[29:30], v20 offset:9504
	ds_read2_b64 v[20:23], v21 offset0:82 offset1:181
.LBB0_19:
	s_or_b32 exec_lo, exec_lo, s4
	v_and_b32_e32 v31, 0xff, v34
	v_mov_b32_e32 v35, 12
	v_mul_lo_u16 v32, 0xab, v31
	v_lshrrev_b16 v32, 9, v32
	v_mul_lo_u16 v33, v32, 3
	v_sub_nc_u16 v33, v34, v33
	v_mul_u32_u24_sdwa v35, v33, v35 dst_sel:DWORD dst_unused:UNUSED_PAD src0_sel:BYTE_0 src1_sel:DWORD
	v_lshlrev_b32_e32 v35, 3, v35
	s_clause 0x5
	global_load_dwordx4 v[47:50], v35, s[12:13] offset:16
	global_load_dwordx4 v[55:58], v35, s[12:13]
	global_load_dwordx4 v[59:62], v35, s[12:13] offset:32
	global_load_dwordx4 v[63:66], v35, s[12:13] offset:48
	;; [unrolled: 1-line block ×4, first 2 shown]
	s_waitcnt vmcnt(0) lgkmcnt(0)
	s_barrier
	buffer_gl0_inv
	v_mul_f32_e32 v46, v7, v48
	v_mul_f32_e32 v44, v6, v48
	;; [unrolled: 1-line block ×24, first 2 shown]
	v_fmac_f32_e32 v41, v9, v49
	v_fma_f32 v54, v2, v55, -v54
	v_fmac_f32_e32 v48, v3, v55
	v_fma_f32 v9, v29, v73, -v70
	v_fmac_f32_e32 v35, v30, v73
	v_fma_f32 v52, v6, v47, -v46
	v_fmac_f32_e32 v44, v7, v47
	v_fma_f32 v53, v4, v57, -v53
	v_fmac_f32_e32 v45, v5, v57
	v_fma_f32 v47, v22, v63, -v60
	v_fma_f32 v22, v12, v69, -v66
	v_fma_f32 v12, v14, v71, -v68
	v_fmac_f32_e32 v36, v15, v71
	v_sub_f32_e32 v57, v54, v9
	v_sub_f32_e32 v29, v48, v35
	v_fma_f32 v50, v8, v49, -v51
	v_fma_f32 v49, v20, v61, -v58
	v_fmac_f32_e32 v39, v13, v69
	v_add_f32_e32 v2, v54, v9
	v_add_f32_e32 v4, v48, v35
	v_sub_f32_e32 v58, v53, v12
	v_sub_f32_e32 v30, v45, v36
	v_mul_f32_e32 v73, 0xbf52af12, v29
	v_mul_f32_e32 v76, 0xbf52af12, v57
	;; [unrolled: 1-line block ×6, first 2 shown]
	v_fmac_f32_e32 v42, v21, v61
	v_fmac_f32_e32 v40, v23, v63
	v_fma_f32 v46, v16, v65, -v62
	v_fmac_f32_e32 v38, v17, v65
	v_fma_f32 v23, v18, v67, -v64
	v_fmac_f32_e32 v37, v19, v67
	v_add_f32_e32 v3, v53, v12
	v_add_f32_e32 v5, v45, v36
	v_sub_f32_e32 v61, v52, v22
	v_sub_f32_e32 v55, v44, v39
	v_mul_f32_e32 v71, 0xbf6f5d39, v30
	v_mul_f32_e32 v75, 0xbf6f5d39, v58
	;; [unrolled: 1-line block ×6, first 2 shown]
	v_fmamk_f32 v16, v2, 0x3f116cb1, v73
	v_fma_f32 v17, 0x3f116cb1, v4, -v76
	v_fmamk_f32 v107, v2, 0x3df6dbef, v83
	v_fma_f32 v109, 0x3df6dbef, v4, -v88
	;; [unrolled: 2-line block ×3, first 2 shown]
	v_fma_f32 v51, v10, v59, -v56
	v_fmac_f32_e32 v43, v11, v59
	v_add_f32_e32 v6, v52, v22
	v_add_f32_e32 v7, v44, v39
	v_sub_f32_e32 v60, v50, v23
	v_sub_f32_e32 v56, v41, v37
	v_mul_f32_e32 v69, 0xbe750f2a, v55
	v_mul_f32_e32 v74, 0xbe750f2a, v61
	v_mul_f32_e32 v82, 0x3f6f5d39, v55
	v_mul_f32_e32 v86, 0x3f6f5d39, v61
	v_mul_f32_e32 v94, 0x3eedf032, v55
	v_mul_f32_e32 v98, 0x3eedf032, v61
	v_fmamk_f32 v18, v3, 0xbeb58ec6, v71
	v_fma_f32 v19, 0xbeb58ec6, v5, -v75
	v_fmamk_f32 v108, v3, 0xbf788fa5, v81
	v_fma_f32 v110, 0xbf788fa5, v5, -v87
	v_fmamk_f32 v120, v3, 0xbf3f9e67, v95
	v_fma_f32 v122, 0xbf3f9e67, v5, -v99
	v_add_f32_e32 v16, v0, v16
	v_add_f32_e32 v17, v1, v17
	v_add_f32_e32 v107, v0, v107
	v_add_f32_e32 v109, v1, v109
	v_add_f32_e32 v119, v0, v119
	v_add_f32_e32 v121, v1, v121
	v_add_f32_e32 v8, v50, v23
	v_add_f32_e32 v10, v41, v37
	v_sub_f32_e32 v59, v43, v38
	v_sub_f32_e32 v64, v51, v46
	v_mul_f32_e32 v68, 0x3f29c268, v56
	v_mul_f32_e32 v72, 0x3f29c268, v60
	v_mul_f32_e32 v80, 0x3eedf032, v56
	v_mul_f32_e32 v85, 0x3eedf032, v60
	v_mul_f32_e32 v91, 0xbf7e222b, v56
	v_mul_f32_e32 v97, 0xbf7e222b, v60
	v_fmamk_f32 v20, v6, 0xbf788fa5, v69
	v_fma_f32 v21, 0xbf788fa5, v7, -v74
	v_fmamk_f32 v111, v6, 0xbeb58ec6, v82
	v_fma_f32 v112, 0xbeb58ec6, v7, -v86
	v_fmamk_f32 v123, v6, 0x3f62ad3f, v94
	v_fma_f32 v124, 0x3f62ad3f, v7, -v98
	v_add_f32_e32 v16, v18, v16
	v_add_f32_e32 v17, v19, v17
	v_add_f32_e32 v18, v108, v107
	v_add_f32_e32 v19, v110, v109
	v_add_f32_e32 v107, v120, v119
	v_add_f32_e32 v108, v122, v121
	;; [unrolled: 22-line block ×3, first 2 shown]
	v_add_f32_e32 v14, v49, v47
	v_add_f32_e32 v15, v42, v40
	v_mul_f32_e32 v65, 0x3eedf032, v62
	v_mul_f32_e32 v67, 0x3eedf032, v63
	;; [unrolled: 1-line block ×6, first 2 shown]
	v_fmamk_f32 v103, v11, 0x3df6dbef, v66
	v_fma_f32 v104, 0x3df6dbef, v13, -v70
	v_fmamk_f32 v115, v11, 0x3f116cb1, v78
	v_fma_f32 v116, 0x3f116cb1, v13, -v84
	;; [unrolled: 2-line block ×3, first 2 shown]
	v_add_f32_e32 v16, v101, v16
	v_add_f32_e32 v17, v102, v17
	;; [unrolled: 1-line block ×6, first 2 shown]
	v_fmamk_f32 v105, v14, 0x3f62ad3f, v65
	v_fma_f32 v106, 0x3f62ad3f, v15, -v67
	v_fmamk_f32 v117, v14, 0xbf3f9e67, v77
	v_fma_f32 v118, 0xbf3f9e67, v15, -v79
	;; [unrolled: 2-line block ×3, first 2 shown]
	v_add_f32_e32 v16, v103, v16
	v_add_f32_e32 v17, v104, v17
	;; [unrolled: 1-line block ×12, first 2 shown]
	s_and_saveexec_b32 s4, s1
	s_cbranch_execz .LBB0_21
; %bb.20:
	v_mul_f32_e32 v103, 0xbe750f2a, v57
	v_mul_f32_e32 v104, 0xbe750f2a, v29
	;; [unrolled: 1-line block ×5, first 2 shown]
	v_fmamk_f32 v101, v4, 0xbf788fa5, v103
	v_fma_f32 v102, 0xbf788fa5, v2, -v104
	v_fmamk_f32 v110, v5, 0x3f62ad3f, v105
	v_mul_f32_e32 v108, 0xbf29c268, v55
	v_mul_f32_e32 v109, 0x3f52af12, v60
	v_add_f32_e32 v101, v1, v101
	v_fma_f32 v112, 0x3f62ad3f, v3, -v107
	v_fmamk_f32 v113, v7, 0xbf3f9e67, v106
	v_add_f32_e32 v102, v0, v102
	v_mul_f32_e32 v111, 0x3f52af12, v56
	v_add_f32_e32 v101, v110, v101
	v_mul_f32_e32 v110, 0xbf6f5d39, v64
	v_fma_f32 v114, 0xbf3f9e67, v6, -v108
	v_fmamk_f32 v115, v10, 0x3f116cb1, v109
	v_add_f32_e32 v102, v112, v102
	v_add_f32_e32 v101, v113, v101
	v_mul_f32_e32 v112, 0xbf6f5d39, v59
	v_fma_f32 v113, 0x3f116cb1, v8, -v111
	v_fmamk_f32 v116, v13, 0xbeb58ec6, v110
	v_add_f32_e32 v102, v114, v102
	v_add_f32_e32 v101, v115, v101
	v_mul_f32_e32 v114, 0xbf29c268, v57
	v_fma_f32 v117, 0xbeb58ec6, v11, -v112
	v_mul_f32_e32 v119, 0xbf29c268, v29
	v_add_f32_e32 v102, v113, v102
	v_add_f32_e32 v101, v116, v101
	v_fmamk_f32 v113, v4, 0xbf3f9e67, v114
	v_mul_f32_e32 v116, 0x3f7e222b, v58
	v_mul_f32_e32 v120, 0xbf52af12, v61
	v_add_f32_e32 v117, v117, v102
	v_fma_f32 v122, 0xbf3f9e67, v2, -v119
	v_add_f32_e32 v102, v1, v113
	v_fmamk_f32 v113, v5, 0x3df6dbef, v116
	v_mul_f32_e32 v123, 0x3f7e222b, v30
	v_mul_f32_e32 v124, 0x3e750f2a, v60
	v_add_f32_e32 v122, v0, v122
	v_mul_f32_e32 v126, 0xbf52af12, v55
	v_add_f32_e32 v102, v113, v102
	v_fmamk_f32 v113, v7, 0x3f116cb1, v120
	v_fma_f32 v125, 0x3df6dbef, v3, -v123
	v_mul_f32_e32 v115, 0x3f7e222b, v63
	v_mul_f32_e32 v127, 0x3eedf032, v64
	;; [unrolled: 1-line block ×3, first 2 shown]
	v_add_f32_e32 v102, v113, v102
	v_fmamk_f32 v113, v10, 0xbf788fa5, v124
	v_add_f32_e32 v122, v125, v122
	v_fma_f32 v125, 0x3f116cb1, v6, -v126
	v_mul_f32_e32 v118, 0x3f7e222b, v62
	v_fmamk_f32 v121, v15, 0x3df6dbef, v115
	v_add_f32_e32 v113, v113, v102
	v_fmamk_f32 v130, v13, 0x3f62ad3f, v127
	v_add_f32_e32 v122, v125, v122
	v_fma_f32 v125, 0xbf788fa5, v8, -v128
	v_mul_f32_e32 v131, 0x3eedf032, v59
	v_fma_f32 v129, 0x3df6dbef, v14, -v118
	v_add_f32_e32 v102, v121, v101
	v_mul_f32_e32 v121, 0xbf6f5d39, v63
	v_add_f32_e32 v113, v130, v113
	v_add_f32_e32 v122, v125, v122
	v_fma_f32 v125, 0x3f62ad3f, v11, -v131
	v_mul_f32_e32 v130, 0xbeb58ec6, v4
	v_fmamk_f32 v132, v15, 0xbeb58ec6, v121
	v_add_f32_e32 v101, v129, v117
	v_mul_f32_e32 v117, 0xbf3f9e67, v5
	v_add_f32_e32 v122, v125, v122
	v_add_f32_e32 v125, v100, v130
	;; [unrolled: 1-line block ×3, first 2 shown]
	v_mul_f32_e32 v113, 0xbf6f5d39, v62
	v_add_f32_e32 v99, v99, v117
	v_mul_f32_e32 v117, 0xbeb58ec6, v2
	v_add_f32_e32 v125, v1, v125
	v_mul_f32_e32 v129, 0x3f62ad3f, v7
	v_fma_f32 v130, 0xbeb58ec6, v14, -v113
	v_mul_f32_e32 v132, 0xbf3f9e67, v3
	v_sub_f32_e32 v96, v117, v96
	v_add_f32_e32 v117, v99, v125
	v_add_f32_e32 v98, v98, v129
	v_mul_f32_e32 v125, 0x3df6dbef, v10
	v_sub_f32_e32 v95, v132, v95
	v_add_f32_e32 v96, v0, v96
	v_add_f32_e32 v99, v130, v122
	v_mul_f32_e32 v122, 0x3f62ad3f, v6
	v_add_f32_e32 v98, v98, v117
	v_add_f32_e32 v97, v97, v125
	;; [unrolled: 1-line block ×3, first 2 shown]
	v_mul_f32_e32 v117, 0x3df6dbef, v8
	v_sub_f32_e32 v94, v122, v94
	v_mul_f32_e32 v96, 0xbf788fa5, v13
	v_add_f32_e32 v97, v97, v98
	v_mul_f32_e32 v98, 0x3df6dbef, v4
	v_sub_f32_e32 v91, v117, v91
	v_add_f32_e32 v94, v94, v95
	v_mul_f32_e32 v95, 0xbf788fa5, v5
	v_add_f32_e32 v93, v93, v96
	v_add_f32_e32 v88, v88, v98
	v_mul_f32_e32 v96, 0xbf788fa5, v11
	v_add_f32_e32 v91, v91, v94
	v_add_f32_e32 v87, v87, v95
	v_mul_f32_e32 v94, 0xbeb58ec6, v7
	v_add_f32_e32 v88, v1, v88
	v_sub_f32_e32 v90, v96, v90
	v_add_f32_e32 v48, v1, v48
	v_mul_f32_e32 v61, 0xbf7e222b, v61
	v_add_f32_e32 v86, v86, v94
	v_add_f32_e32 v87, v87, v88
	v_mul_f32_e32 v88, 0x3df6dbef, v2
	v_add_f32_e32 v90, v90, v91
	v_mul_f32_e32 v91, 0x3f62ad3f, v10
	v_mul_f32_e32 v94, 0xbf788fa5, v3
	v_add_f32_e32 v86, v86, v87
	v_sub_f32_e32 v83, v88, v83
	v_mul_f32_e32 v87, 0x3f116cb1, v14
	v_add_f32_e32 v85, v85, v91
	v_sub_f32_e32 v81, v94, v81
	;; [unrolled: 3-line block ×4, first 2 shown]
	v_add_f32_e32 v83, v81, v83
	v_mul_f32_e32 v88, 0x3f62ad3f, v8
	v_add_f32_e32 v84, v84, v89
	v_add_f32_e32 v45, v48, v45
	v_mul_f32_e32 v60, 0xbf6f5d39, v60
	v_add_f32_e32 v83, v86, v83
	v_sub_f32_e32 v80, v88, v80
	v_add_f32_e32 v84, v84, v85
	v_mul_f32_e32 v85, 0x3f116cb1, v4
	v_mul_f32_e32 v86, 0x3f116cb1, v11
	v_add_f32_e32 v44, v45, v44
	v_add_f32_e32 v80, v80, v83
	v_mul_f32_e32 v83, 0xbeb58ec6, v5
	v_add_f32_e32 v76, v76, v85
	v_sub_f32_e32 v78, v86, v78
	v_mul_f32_e32 v85, 0xbf3f9e67, v14
	v_add_f32_e32 v45, v0, v54
	v_add_f32_e32 v75, v75, v83
	;; [unrolled: 1-line block ×4, first 2 shown]
	v_mul_f32_e32 v80, 0x3f116cb1, v2
	v_mul_f32_e32 v83, 0xbf788fa5, v7
	v_sub_f32_e32 v77, v85, v77
	v_add_f32_e32 v75, v75, v76
	v_mul_f32_e32 v76, 0xbeb58ec6, v3
	v_sub_f32_e32 v73, v80, v73
	v_add_f32_e32 v74, v74, v83
	v_mul_f32_e32 v83, 0xbf3f9e67, v10
	v_mul_f32_e32 v80, 0xbf788fa5, v6
	v_sub_f32_e32 v71, v76, v71
	v_add_f32_e32 v73, v0, v73
	v_add_f32_e32 v74, v74, v75
	;; [unrolled: 1-line block ×3, first 2 shown]
	v_mul_f32_e32 v83, 0x3df6dbef, v13
	v_mul_f32_e32 v76, 0xbf3f9e67, v8
	v_add_f32_e32 v71, v71, v73
	v_sub_f32_e32 v80, v80, v69
	v_add_f32_e32 v72, v72, v74
	v_add_f32_e32 v70, v70, v83
	v_mul_f32_e32 v74, 0xbeedf032, v57
	v_mul_f32_e32 v75, 0x3df6dbef, v11
	;; [unrolled: 1-line block ×3, first 2 shown]
	v_add_f32_e32 v57, v80, v71
	v_sub_f32_e32 v71, v76, v68
	v_add_f32_e32 v70, v70, v72
	v_fmamk_f32 v72, v4, 0x3f62ad3f, v74
	v_mul_f32_e32 v76, 0xbf52af12, v58
	v_mul_f32_e32 v73, 0x3f62ad3f, v14
	v_add_f32_e32 v57, v71, v57
	v_sub_f32_e32 v58, v75, v66
	v_add_f32_e32 v66, v67, v85
	v_add_f32_e32 v67, v1, v72
	v_fmamk_f32 v71, v5, 0x3f116cb1, v76
	v_add_f32_e32 v41, v44, v41
	v_add_f32_e32 v44, v45, v53
	;; [unrolled: 1-line block ×3, first 2 shown]
	v_sub_f32_e32 v65, v73, v65
	v_add_f32_e32 v67, v71, v67
	v_fmamk_f32 v71, v7, 0x3df6dbef, v61
	v_mul_f32_e32 v53, 0xbf52af12, v30
	v_add_f32_e32 v30, v41, v43
	v_add_f32_e32 v41, v44, v52
	;; [unrolled: 1-line block ×4, first 2 shown]
	v_fmamk_f32 v65, v10, 0xbeb58ec6, v60
	v_mul_f32_e32 v64, 0xbf29c268, v64
	v_add_f32_e32 v30, v30, v42
	v_add_f32_e32 v41, v41, v50
	v_mul_f32_e32 v54, 0xbeedf032, v29
	v_add_f32_e32 v29, v65, v48
	v_fmamk_f32 v48, v13, 0xbf3f9e67, v64
	v_mul_f32_e32 v42, 0xbe750f2a, v63
	v_add_f32_e32 v30, v30, v40
	v_add_f32_e32 v40, v41, v51
	v_fma_f32 v45, 0x3f62ad3f, v2, -v54
	v_add_f32_e32 v29, v48, v29
	v_fmamk_f32 v48, v15, 0xbf788fa5, v42
	v_add_f32_e32 v38, v30, v38
	v_add_f32_e32 v40, v40, v49
	;; [unrolled: 1-line block ×3, first 2 shown]
	v_fma_f32 v44, 0x3f116cb1, v3, -v53
	v_mul_f32_e32 v45, 0xbf7e222b, v55
	v_add_f32_e32 v30, v48, v29
	v_add_f32_e32 v29, v38, v37
	;; [unrolled: 1-line block ×4, first 2 shown]
	v_fma_f32 v44, 0x3df6dbef, v6, -v45
	v_mul_f32_e32 v41, 0xbf6f5d39, v56
	v_mul_f32_e32 v49, 0xbf29c268, v59
	v_add_f32_e32 v37, v37, v46
	v_add_f32_e32 v29, v29, v39
	;; [unrolled: 1-line block ×3, first 2 shown]
	v_fma_f32 v44, 0xbeb58ec6, v8, -v41
	v_fma_f32 v39, 0xbf788fa5, v4, -v103
	v_add_f32_e32 v37, v37, v23
	v_fmac_f32_e32 v104, 0xbf788fa5, v2
	v_fma_f32 v40, 0xbf3f9e67, v11, -v49
	v_add_f32_e32 v38, v44, v43
	v_mul_f32_e32 v43, 0xbe750f2a, v62
	v_add_f32_e32 v36, v29, v36
	v_add_f32_e32 v39, v1, v39
	v_fma_f32 v44, 0x3f62ad3f, v5, -v105
	v_add_f32_e32 v22, v37, v22
	v_add_f32_e32 v37, v0, v104
	v_fmac_f32_e32 v107, 0x3f62ad3f, v3
	v_add_f32_e32 v38, v40, v38
	v_fma_f32 v40, 0xbf788fa5, v14, -v43
	v_add_f32_e32 v23, v36, v35
	v_add_f32_e32 v35, v44, v39
	v_fma_f32 v36, 0xbf3f9e67, v7, -v106
	v_add_f32_e32 v12, v22, v12
	v_fma_f32 v22, 0xbf3f9e67, v4, -v114
	v_add_f32_e32 v37, v107, v37
	v_fmac_f32_e32 v108, 0xbf3f9e67, v6
	v_add_f32_e32 v29, v40, v38
	v_add_f32_e32 v35, v36, v35
	v_fma_f32 v36, 0x3f116cb1, v10, -v109
	v_add_f32_e32 v22, v1, v22
	v_fma_f32 v38, 0x3df6dbef, v5, -v116
	v_add_f32_e32 v37, v108, v37
	v_fmac_f32_e32 v111, 0x3f116cb1, v8
	v_add_f32_e32 v35, v36, v35
	v_fma_f32 v36, 0xbeb58ec6, v13, -v110
	v_add_f32_e32 v38, v38, v22
	v_fma_f32 v39, 0x3f116cb1, v7, -v120
	v_add_f32_e32 v22, v12, v9
	v_add_f32_e32 v12, v111, v37
	v_fmac_f32_e32 v112, 0xbeb58ec6, v11
	v_fmac_f32_e32 v119, 0xbf3f9e67, v2
	v_fma_f32 v4, 0x3f62ad3f, v4, -v74
	v_add_f32_e32 v9, v36, v35
	v_add_f32_e32 v35, v39, v38
	v_fma_f32 v36, 0xbf788fa5, v10, -v124
	v_add_f32_e32 v12, v112, v12
	v_fmac_f32_e32 v118, 0x3df6dbef, v14
	v_add_f32_e32 v40, v0, v119
	v_fmac_f32_e32 v123, 0x3df6dbef, v3
	v_fmac_f32_e32 v54, 0x3f62ad3f, v2
	v_add_f32_e32 v1, v1, v4
	v_fma_f32 v2, 0x3f116cb1, v5, -v76
	v_add_f32_e32 v38, v36, v35
	v_add_f32_e32 v35, v118, v12
	;; [unrolled: 1-line block ×3, first 2 shown]
	v_fmac_f32_e32 v126, 0x3f116cb1, v6
	v_add_f32_e32 v0, v0, v54
	v_fmac_f32_e32 v53, 0x3f116cb1, v3
	v_add_f32_e32 v1, v2, v1
	v_fma_f32 v2, 0x3df6dbef, v7, -v61
	v_add_f32_e32 v4, v126, v12
	v_fmac_f32_e32 v128, 0xbf788fa5, v8
	v_add_f32_e32 v0, v53, v0
	v_fmac_f32_e32 v45, 0x3df6dbef, v6
	v_add_f32_e32 v1, v2, v1
	v_fma_f32 v2, 0xbeb58ec6, v10, -v60
	v_add_f32_e32 v3, v128, v4
	v_fmac_f32_e32 v41, 0xbeb58ec6, v8
	v_add_f32_e32 v0, v45, v0
	v_mov_b32_e32 v4, 3
	v_add_f32_e32 v1, v2, v1
	v_mov_b32_e32 v2, 0x138
	v_add_f32_e32 v81, v87, v90
	v_mul_f32_e32 v87, 0xbf3f9e67, v15
	v_add_f32_e32 v93, v93, v97
	v_mul_f32_e32 v97, 0x3f116cb1, v15
	v_fma_f32 v37, 0x3df6dbef, v15, -v115
	v_fma_f32 v39, 0x3f62ad3f, v13, -v127
	v_fmac_f32_e32 v131, 0x3f62ad3f, v11
	v_fma_f32 v5, 0xbf3f9e67, v13, -v64
	v_add_f32_e32 v0, v41, v0
	v_fmac_f32_e32 v49, 0xbf3f9e67, v11
	v_mul_u32_u24_sdwa v2, v32, v2 dst_sel:DWORD dst_unused:UNUSED_PAD src0_sel:WORD_0 src1_sel:DWORD
	v_lshlrev_b32_sdwa v4, v4, v33 dst_sel:DWORD dst_unused:UNUSED_PAD src0_sel:DWORD src1_sel:BYTE_0
	v_add_f32_e32 v79, v79, v87
	v_add_f32_e32 v92, v92, v97
	;; [unrolled: 1-line block ×4, first 2 shown]
	v_fma_f32 v37, 0xbeb58ec6, v15, -v121
	v_add_f32_e32 v3, v131, v3
	v_fmac_f32_e32 v113, 0xbeb58ec6, v14
	v_add_f32_e32 v5, v5, v1
	v_fma_f32 v6, 0xbf788fa5, v15, -v42
	v_add_f32_e32 v7, v49, v0
	v_fmac_f32_e32 v43, 0xbf788fa5, v14
	v_add3_u32 v4, 0, v2, v4
	v_add_f32_e32 v69, v79, v84
	v_add_f32_e32 v68, v77, v78
	;; [unrolled: 1-line block ×8, first 2 shown]
	ds_write2_b64 v4, v[22:23], v[29:30] offset1:3
	ds_write2_b64 v4, v[57:58], v[68:69] offset0:6 offset1:9
	ds_write2_b64 v4, v[81:82], v[99:100] offset0:12 offset1:15
	;; [unrolled: 1-line block ×5, first 2 shown]
	ds_write_b64 v4, v[2:3] offset:288
.LBB0_21:
	s_or_b32 exec_lo, exec_lo, s4
	v_lshl_add_u32 v29, v34, 3, 0
	s_waitcnt lgkmcnt(0)
	s_barrier
	buffer_gl0_inv
	v_add_nc_u32_e32 v0, 0x600, v29
	v_add_nc_u32_e32 v8, 0x1800, v29
	;; [unrolled: 1-line block ×3, first 2 shown]
	ds_read2_b64 v[4:7], v29 offset1:117
	ds_read2_b64 v[0:3], v0 offset0:42 offset1:237
	ds_read2_b64 v[8:11], v8 offset0:90 offset1:207
	ds_read2_b64 v[12:15], v12 offset0:34 offset1:151
	ds_read_b64 v[22:23], v29 offset:8736
	s_and_saveexec_b32 s1, s0
	s_cbranch_execz .LBB0_23
; %bb.22:
	ds_read_b64 v[16:17], v29 offset:2808
	ds_read_b64 v[20:21], v29 offset:6240
	;; [unrolled: 1-line block ×3, first 2 shown]
.LBB0_23:
	s_or_b32 exec_lo, exec_lo, s1
	v_add_nc_u32_e32 v32, 0xea, v34
	v_mul_lo_u16 v31, 0xa5, v31
	v_mov_b32_e32 v30, 0xa41b
	v_add_nc_u16 v43, v34, 0x75
	v_mov_b32_e32 v52, 0x3a8
	v_lshrrev_b16 v31, 8, v31
	v_mul_u32_u24_sdwa v33, v32, v30 dst_sel:DWORD dst_unused:UNUSED_PAD src0_sel:WORD_0 src1_sel:DWORD
	v_and_b32_e32 v36, 0xff, v43
	v_sub_nc_u16 v35, v34, v31
	v_lshrrev_b32_e32 v33, 16, v33
	v_mul_lo_u16 v36, 0xa5, v36
	v_lshrrev_b16 v35, 1, v35
	v_sub_nc_u16 v37, v32, v33
	v_lshrrev_b16 v36, 8, v36
	v_and_b32_e32 v35, 0x7f, v35
	v_lshrrev_b16 v37, 1, v37
	v_add_nc_u16 v31, v35, v31
	v_add_nc_u16 v33, v37, v33
	v_sub_nc_u16 v35, v43, v36
	v_lshrrev_b16 v31, 5, v31
	v_lshrrev_b16 v33, 5, v33
	;; [unrolled: 1-line block ×3, first 2 shown]
	v_and_b32_e32 v47, 7, v31
	v_mul_lo_u16 v37, v33, 39
	v_and_b32_e32 v35, 0x7f, v35
	v_mov_b32_e32 v31, 4
	v_mul_u32_u24_sdwa v33, v33, v52 dst_sel:DWORD dst_unused:UNUSED_PAD src0_sel:WORD_0 src1_sel:DWORD
	v_mul_lo_u16 v38, v47, 39
	v_sub_nc_u16 v48, v32, v37
	v_add_nc_u16 v32, v35, v36
	v_mul_u32_u24_sdwa v47, v47, v52 dst_sel:DWORD dst_unused:UNUSED_PAD src0_sel:WORD_0 src1_sel:DWORD
	v_sub_nc_u16 v49, v34, v38
	v_lshlrev_b32_sdwa v35, v31, v48 dst_sel:DWORD dst_unused:UNUSED_PAD src0_sel:DWORD src1_sel:WORD_0
	v_lshrrev_b16 v32, 5, v32
	v_lshlrev_b32_sdwa v39, v31, v49 dst_sel:DWORD dst_unused:UNUSED_PAD src0_sel:DWORD src1_sel:BYTE_0
	global_load_dwordx4 v[35:38], v35, s[12:13] offset:288
	v_and_b32_e32 v50, 7, v32
	global_load_dwordx4 v[39:42], v39, s[12:13] offset:288
	v_mul_lo_u16 v32, v50, 39
	v_mul_u32_u24_sdwa v50, v50, v52 dst_sel:DWORD dst_unused:UNUSED_PAD src0_sel:WORD_0 src1_sel:DWORD
	v_sub_nc_u16 v51, v43, v32
	v_lshlrev_b32_sdwa v32, v31, v51 dst_sel:DWORD dst_unused:UNUSED_PAD src0_sel:DWORD src1_sel:BYTE_0
	global_load_dwordx4 v[43:46], v32, s[12:13] offset:288
	v_mov_b32_e32 v32, 3
	s_waitcnt vmcnt(0) lgkmcnt(0)
	s_barrier
	buffer_gl0_inv
	v_lshlrev_b32_sdwa v48, v32, v48 dst_sel:DWORD dst_unused:UNUSED_PAD src0_sel:DWORD src1_sel:WORD_0
	v_lshlrev_b32_sdwa v49, v32, v49 dst_sel:DWORD dst_unused:UNUSED_PAD src0_sel:DWORD src1_sel:BYTE_0
	v_add3_u32 v33, 0, v33, v48
	v_lshlrev_b32_sdwa v48, v32, v51 dst_sel:DWORD dst_unused:UNUSED_PAD src0_sel:DWORD src1_sel:BYTE_0
	v_add3_u32 v47, 0, v47, v49
	v_add3_u32 v48, 0, v50, v48
	v_mul_f32_e32 v49, v36, v15
	v_mul_f32_e32 v36, v36, v14
	;; [unrolled: 1-line block ×8, first 2 shown]
	v_fma_f32 v14, v35, v14, -v49
	v_fmac_f32_e32 v36, v35, v15
	v_fma_f32 v15, v37, v22, -v50
	v_fmac_f32_e32 v38, v37, v23
	;; [unrolled: 2-line block ×4, first 2 shown]
	v_add_f32_e32 v3, v0, v14
	v_add_f32_e32 v9, v14, v15
	v_sub_f32_e32 v22, v36, v38
	v_add_f32_e32 v23, v1, v36
	v_add_f32_e32 v35, v36, v38
	v_sub_f32_e32 v36, v14, v15
	v_mul_f32_e32 v14, v44, v13
	v_mul_f32_e32 v37, v44, v12
	;; [unrolled: 1-line block ×4, first 2 shown]
	v_add_f32_e32 v44, v4, v2
	v_add_f32_e32 v46, v2, v8
	v_sub_f32_e32 v51, v2, v8
	v_add_f32_e32 v2, v3, v15
	v_fma_f32 v0, -0.5, v9, v0
	v_fma_f32 v14, v43, v12, -v14
	v_fmac_f32_e32 v37, v43, v13
	v_fma_f32 v15, v45, v10, -v39
	v_fmac_f32_e32 v41, v45, v11
	v_sub_f32_e32 v49, v40, v42
	v_add_f32_e32 v50, v5, v40
	v_add_f32_e32 v40, v40, v42
	v_fmac_f32_e32 v1, -0.5, v35
	v_fmamk_f32 v10, v22, 0x3f5db3d7, v0
	v_fmac_f32_e32 v0, 0xbf5db3d7, v22
	v_add_f32_e32 v22, v14, v15
	v_add_f32_e32 v35, v37, v41
	v_fma_f32 v4, -0.5, v46, v4
	v_fma_f32 v5, -0.5, v40, v5
	v_add_f32_e32 v3, v23, v38
	v_add_f32_e32 v23, v6, v14
	v_sub_f32_e32 v38, v37, v41
	v_add_f32_e32 v37, v7, v37
	v_fma_f32 v6, -0.5, v22, v6
	v_sub_f32_e32 v39, v14, v15
	v_fmac_f32_e32 v7, -0.5, v35
	v_add_f32_e32 v8, v44, v8
	v_add_f32_e32 v9, v50, v42
	v_fmamk_f32 v12, v49, 0x3f5db3d7, v4
	v_fmamk_f32 v13, v51, 0xbf5db3d7, v5
	v_fmac_f32_e32 v4, 0xbf5db3d7, v49
	v_fmac_f32_e32 v5, 0x3f5db3d7, v51
	v_add_f32_e32 v14, v23, v15
	v_add_f32_e32 v15, v37, v41
	v_fmamk_f32 v22, v38, 0x3f5db3d7, v6
	v_fmamk_f32 v23, v39, 0xbf5db3d7, v7
	v_fmac_f32_e32 v6, 0xbf5db3d7, v38
	v_fmac_f32_e32 v7, 0x3f5db3d7, v39
	v_fmamk_f32 v11, v36, 0xbf5db3d7, v1
	v_fmac_f32_e32 v1, 0x3f5db3d7, v36
	ds_write2_b64 v47, v[8:9], v[12:13] offset1:39
	ds_write_b64 v47, v[4:5] offset:624
	ds_write2_b64 v48, v[14:15], v[22:23] offset1:39
	ds_write_b64 v48, v[6:7] offset:624
	;; [unrolled: 2-line block ×3, first 2 shown]
	s_and_saveexec_b32 s1, s0
	s_cbranch_execz .LBB0_25
; %bb.24:
	v_add_nc_u32_e32 v0, 0x15f, v34
	v_mul_u32_u24_sdwa v1, v0, v30 dst_sel:DWORD dst_unused:UNUSED_PAD src0_sel:WORD_0 src1_sel:DWORD
	v_lshrrev_b32_e32 v1, 16, v1
	v_sub_nc_u16 v2, v0, v1
	v_lshrrev_b16 v2, 1, v2
	v_add_nc_u16 v1, v2, v1
	v_lshrrev_b16 v4, 5, v1
	v_mul_lo_u16 v1, v4, 39
	v_mul_lo_u16 v4, 0x75, v4
	v_sub_nc_u16 v5, v0, v1
	v_lshlrev_b32_sdwa v4, v32, v4 dst_sel:DWORD dst_unused:UNUSED_PAD src0_sel:DWORD src1_sel:WORD_0
	v_lshlrev_b32_sdwa v0, v31, v5 dst_sel:DWORD dst_unused:UNUSED_PAD src0_sel:DWORD src1_sel:WORD_0
	global_load_dwordx4 v[0:3], v0, s[12:13] offset:288
	s_waitcnt vmcnt(0)
	v_mul_f32_e32 v6, v21, v1
	v_mul_f32_e32 v7, v20, v1
	;; [unrolled: 1-line block ×4, first 2 shown]
	v_lshlrev_b32_sdwa v3, v32, v5 dst_sel:DWORD dst_unused:UNUSED_PAD src0_sel:DWORD src1_sel:WORD_0
	v_fma_f32 v5, v20, v0, -v6
	v_fmac_f32_e32 v7, v21, v0
	v_fmac_f32_e32 v8, v19, v2
	v_fma_f32 v2, v18, v2, -v1
	v_add3_u32 v6, 0, v3, v4
	v_add_f32_e32 v9, v17, v7
	v_add_f32_e32 v0, v7, v8
	;; [unrolled: 1-line block ×3, first 2 shown]
	v_sub_f32_e32 v4, v5, v2
	v_add_f32_e32 v5, v16, v5
	v_sub_f32_e32 v7, v7, v8
	v_fma_f32 v1, -0.5, v0, v17
	v_fma_f32 v0, -0.5, v3, v16
	v_add_f32_e32 v3, v9, v8
	v_add_f32_e32 v2, v5, v2
	v_fmamk_f32 v5, v4, 0x3f5db3d7, v1
	v_fmac_f32_e32 v1, 0xbf5db3d7, v4
	v_fmamk_f32 v4, v7, 0xbf5db3d7, v0
	v_fmac_f32_e32 v0, 0x3f5db3d7, v7
	ds_write2_b64 v6, v[2:3], v[0:1] offset1:39
	ds_write_b64 v6, v[4:5] offset:624
.LBB0_25:
	s_or_b32 exec_lo, exec_lo, s1
	s_waitcnt lgkmcnt(0)
	s_barrier
	buffer_gl0_inv
	s_and_saveexec_b32 s0, vcc_lo
	s_cbranch_execz .LBB0_27
; %bb.26:
	v_mul_u32_u24_e32 v0, 10, v34
	v_mul_lo_u32 v30, s3, v27
	v_mul_lo_u32 v31, s2, v28
	v_mad_u64_u32 v[27:28], null, s2, v27, 0
	v_lshlrev_b32_e32 v0, 3, v0
	v_lshlrev_b64 v[24:25], 3, v[24:25]
	v_add_nc_u32_e32 v38, 0x1400, v29
	v_add_nc_u32_e32 v39, 0xc00, v29
	;; [unrolled: 1-line block ×3, first 2 shown]
	s_clause 0x4
	global_load_dwordx4 v[4:7], v0, s[12:13] offset:976
	global_load_dwordx4 v[8:11], v0, s[12:13] offset:912
	;; [unrolled: 1-line block ×5, first 2 shown]
	v_add3_u32 v28, v28, v31, v30
	ds_read_b64 v[40:41], v29 offset:9360
	ds_read2_b64 v[0:3], v29 offset1:117
	v_add_nc_u32_e32 v30, 0x1c00, v29
	v_lshlrev_b64 v[36:37], 3, v[27:28]
	v_mov_b32_e32 v27, 0
	ds_read2_b64 v[28:31], v30 offset0:40 offset1:157
	ds_read2_b64 v[32:35], v32 offset0:106 offset1:223
	v_add_co_u32 v42, vcc_lo, s10, v36
	v_add_co_ci_u32_e32 v43, vcc_lo, s11, v37, vcc_lo
	v_lshlrev_b64 v[36:37], 3, v[26:27]
	v_add_co_u32 v42, vcc_lo, v42, v24
	v_add_co_ci_u32_e32 v43, vcc_lo, v43, v25, vcc_lo
	ds_read2_b64 v[24:27], v38 offset0:62 offset1:179
	v_add_co_u32 v42, vcc_lo, v42, v36
	v_add_co_ci_u32_e32 v43, vcc_lo, v43, v37, vcc_lo
	ds_read2_b64 v[36:39], v39 offset0:84 offset1:201
	v_add_co_u32 v44, vcc_lo, 0x800, v42
	v_add_co_ci_u32_e32 v45, vcc_lo, 0, v43, vcc_lo
	v_add_co_u32 v46, vcc_lo, 0x1000, v42
	v_add_co_ci_u32_e32 v47, vcc_lo, 0, v43, vcc_lo
	;; [unrolled: 2-line block ×4, first 2 shown]
	s_waitcnt vmcnt(4) lgkmcnt(5)
	v_mul_f32_e32 v52, v6, v41
	s_waitcnt vmcnt(3) lgkmcnt(4)
	v_mul_f32_e32 v53, v8, v3
	v_mul_f32_e32 v3, v9, v3
	;; [unrolled: 1-line block ×3, first 2 shown]
	s_waitcnt lgkmcnt(3)
	v_mul_f32_e32 v54, v4, v31
	s_waitcnt lgkmcnt(2)
	v_mul_f32_e32 v55, v10, v33
	v_mul_f32_e32 v33, v11, v33
	;; [unrolled: 1-line block ×3, first 2 shown]
	s_waitcnt vmcnt(2)
	v_mul_f32_e32 v56, v14, v29
	s_waitcnt vmcnt(1)
	v_mul_f32_e32 v57, v16, v35
	v_mul_f32_e32 v35, v17, v35
	;; [unrolled: 1-line block ×3, first 2 shown]
	s_waitcnt lgkmcnt(1)
	v_mul_f32_e32 v58, v12, v27
	s_waitcnt lgkmcnt(0)
	v_mul_f32_e32 v59, v18, v37
	v_mul_f32_e32 v37, v19, v37
	;; [unrolled: 1-line block ×3, first 2 shown]
	s_waitcnt vmcnt(0)
	v_mul_f32_e32 v60, v22, v25
	v_mul_f32_e32 v61, v20, v39
	;; [unrolled: 1-line block ×4, first 2 shown]
	v_fmac_f32_e32 v52, v7, v40
	v_fmac_f32_e32 v53, v9, v2
	v_fma_f32 v2, v8, v2, -v3
	v_fma_f32 v40, v40, v6, -v41
	v_fmac_f32_e32 v54, v5, v30
	v_fmac_f32_e32 v55, v11, v32
	v_fma_f32 v3, v10, v32, -v33
	v_fma_f32 v30, v30, v4, -v31
	;; [unrolled: 4-line block ×5, first 2 shown]
	v_add_f32_e32 v9, v52, v53
	v_sub_f32_e32 v10, v2, v40
	v_add_f32_e32 v20, v40, v2
	v_sub_f32_e32 v21, v53, v52
	v_add_f32_e32 v31, v53, v1
	v_add_f32_e32 v2, v2, v0
	;; [unrolled: 1-line block ×3, first 2 shown]
	v_sub_f32_e32 v12, v3, v30
	v_add_f32_e32 v13, v56, v57
	v_sub_f32_e32 v15, v4, v14
	v_add_f32_e32 v16, v58, v59
	v_sub_f32_e32 v17, v5, v6
	v_add_f32_e32 v18, v60, v61
	v_sub_f32_e32 v19, v7, v8
	v_sub_f32_e32 v23, v55, v54
	;; [unrolled: 1-line block ×5, first 2 shown]
	v_mul_f32_e32 v32, 0xbf75a155, v9
	v_mul_f32_e32 v37, 0xbe903f40, v21
	;; [unrolled: 1-line block ×9, first 2 shown]
	v_add_f32_e32 v31, v31, v55
	v_add_f32_e32 v2, v2, v3
	;; [unrolled: 1-line block ×6, first 2 shown]
	v_mul_f32_e32 v33, 0x3f575c64, v11
	v_mul_f32_e32 v34, 0xbf27a4f4, v13
	;; [unrolled: 1-line block ×38, first 2 shown]
	v_fmamk_f32 v3, v10, 0x3e903f40, v32
	v_fmamk_f32 v100, v20, 0xbf75a155, v37
	v_fmac_f32_e32 v32, 0xbe903f40, v10
	v_fma_f32 v10, 0xbf75a155, v20, -v37
	v_fmamk_f32 v37, v9, 0xbf27a4f4, v62
	v_fma_f32 v105, 0xbf27a4f4, v20, -v67
	v_fmamk_f32 v110, v9, 0xbe11bafb, v72
	;; [unrolled: 2-line block ×4, first 2 shown]
	v_add_f32_e32 v31, v31, v57
	v_add_f32_e32 v2, v2, v4
	v_mul_f32_e32 v94, 0xbf7d64f0, v15
	v_mul_f32_e32 v95, 0xbf4178ce, v17
	;; [unrolled: 1-line block ×3, first 2 shown]
	v_fmamk_f32 v55, v12, 0xbf0a6770, v33
	v_fmamk_f32 v97, v15, 0x3f4178ce, v34
	;; [unrolled: 1-line block ×8, first 2 shown]
	v_fmac_f32_e32 v33, 0x3f0a6770, v12
	v_fmac_f32_e32 v34, 0xbf4178ce, v15
	;; [unrolled: 1-line block ×4, first 2 shown]
	v_fma_f32 v12, 0x3f575c64, v22, -v38
	v_fma_f32 v15, 0xbf27a4f4, v24, -v39
	v_fma_f32 v17, 0x3ed4b147, v26, -v41
	v_fma_f32 v19, 0xbe11bafb, v28, -v53
	v_fmamk_f32 v38, v11, 0xbe11bafb, v63
	v_fmamk_f32 v39, v13, 0x3f575c64, v64
	v_fmamk_f32 v41, v16, 0xbf75a155, v65
	v_fmamk_f32 v53, v18, 0x3ed4b147, v66
	v_fma_f32 v106, 0xbe11bafb, v22, -v68
	v_fma_f32 v107, 0x3f575c64, v24, -v69
	v_fma_f32 v108, 0xbf75a155, v26, -v70
	v_fma_f32 v109, 0x3ed4b147, v28, -v71
	v_fmamk_f32 v111, v11, 0xbf75a155, v73
	v_fmamk_f32 v112, v13, 0x3ed4b147, v74
	v_fmamk_f32 v113, v16, 0x3f575c64, v75
	v_fmamk_f32 v114, v18, 0xbf27a4f4, v76
	;; [unrolled: 8-line block ×3, first 2 shown]
	v_fma_f32 v126, 0xbf27a4f4, v22, -v88
	v_fma_f32 v127, 0xbf75a155, v24, -v89
	;; [unrolled: 1-line block ×4, first 2 shown]
	v_fmamk_f32 v131, v11, 0x3ed4b147, v93
	v_fma_f32 v135, 0x3f575c64, v20, -v21
	v_fma_f32 v136, 0x3ed4b147, v22, -v23
	;; [unrolled: 1-line block ×10, first 2 shown]
	v_fmac_f32_e32 v67, 0xbf27a4f4, v20
	v_fmac_f32_e32 v68, 0xbe11bafb, v22
	;; [unrolled: 1-line block ×5, first 2 shown]
	v_fma_f32 v66, 0xbe11bafb, v9, -v72
	v_fma_f32 v72, 0xbf75a155, v11, -v73
	;; [unrolled: 1-line block ×5, first 2 shown]
	v_fmac_f32_e32 v77, 0xbe11bafb, v20
	v_fmac_f32_e32 v78, 0xbf75a155, v22
	;; [unrolled: 1-line block ×5, first 2 shown]
	v_fma_f32 v76, 0x3ed4b147, v9, -v82
	v_fma_f32 v82, 0xbf27a4f4, v11, -v83
	;; [unrolled: 1-line block ×5, first 2 shown]
	v_fmac_f32_e32 v87, 0x3ed4b147, v20
	v_fmac_f32_e32 v88, 0xbf27a4f4, v22
	;; [unrolled: 1-line block ×5, first 2 shown]
	v_fma_f32 v9, 0x3f575c64, v9, -v92
	v_fmac_f32_e32 v21, 0x3f575c64, v20
	v_fmac_f32_e32 v23, 0x3ed4b147, v22
	;; [unrolled: 1-line block ×5, first 2 shown]
	v_add_f32_e32 v20, v100, v0
	v_add_f32_e32 v22, v32, v1
	;; [unrolled: 1-line block ×12, first 2 shown]
	v_fmamk_f32 v132, v13, 0xbe11bafb, v94
	v_fma_f32 v11, 0x3ed4b147, v11, -v93
	v_add_f32_e32 v3, v3, v1
	v_add_f32_e32 v93, v135, v0
	;; [unrolled: 1-line block ×22, first 2 shown]
	v_fmamk_f32 v133, v16, 0xbf27a4f4, v95
	v_fma_f32 v13, 0xbe11bafb, v13, -v94
	v_add_f32_e32 v3, v3, v55
	v_add_f32_e32 v33, v93, v136
	;; [unrolled: 1-line block ×37, first 2 shown]
	v_fmamk_f32 v134, v18, 0xbf75a155, v96
	v_fma_f32 v16, 0xbf27a4f4, v16, -v95
	v_add_f32_e32 v3, v3, v98
	v_add_f32_e32 v11, v11, v35
	;; [unrolled: 1-line block ×24, first 2 shown]
	v_fma_f32 v18, 0xbf75a155, v18, -v96
	v_add_f32_e32 v26, v4, v64
	v_add_f32_e32 v28, v5, v70
	;; [unrolled: 1-line block ×9, first 2 shown]
	global_store_dwordx2 v[42:43], v[10:11], off offset:936
	global_store_dwordx2 v[42:43], v[8:9], off offset:1872
	v_add_f32_e32 v9, v52, v20
	v_add_f32_e32 v8, v40, v21
	;; [unrolled: 1-line block ×10, first 2 shown]
	global_store_dwordx2 v[44:45], v[6:7], off offset:760
	global_store_dwordx2 v[44:45], v[4:5], off offset:1696
	;; [unrolled: 1-line block ×4, first 2 shown]
	global_store_dwordx2 v[42:43], v[8:9], off
	global_store_dwordx2 v[48:49], v[12:13], off offset:408
	global_store_dwordx2 v[48:49], v[14:15], off offset:1344
	;; [unrolled: 1-line block ×4, first 2 shown]
.LBB0_27:
	s_endpgm
	.section	.rodata,"a",@progbits
	.p2align	6, 0x0
	.amdhsa_kernel fft_rtc_fwd_len1287_factors_3_13_3_11_wgs_117_tpt_117_sp_op_CI_CI_unitstride_sbrr_dirReg
		.amdhsa_group_segment_fixed_size 0
		.amdhsa_private_segment_fixed_size 0
		.amdhsa_kernarg_size 104
		.amdhsa_user_sgpr_count 6
		.amdhsa_user_sgpr_private_segment_buffer 1
		.amdhsa_user_sgpr_dispatch_ptr 0
		.amdhsa_user_sgpr_queue_ptr 0
		.amdhsa_user_sgpr_kernarg_segment_ptr 1
		.amdhsa_user_sgpr_dispatch_id 0
		.amdhsa_user_sgpr_flat_scratch_init 0
		.amdhsa_user_sgpr_private_segment_size 0
		.amdhsa_wavefront_size32 1
		.amdhsa_uses_dynamic_stack 0
		.amdhsa_system_sgpr_private_segment_wavefront_offset 0
		.amdhsa_system_sgpr_workgroup_id_x 1
		.amdhsa_system_sgpr_workgroup_id_y 0
		.amdhsa_system_sgpr_workgroup_id_z 0
		.amdhsa_system_sgpr_workgroup_info 0
		.amdhsa_system_vgpr_workitem_id 0
		.amdhsa_next_free_vgpr 139
		.amdhsa_next_free_sgpr 27
		.amdhsa_reserve_vcc 1
		.amdhsa_reserve_flat_scratch 0
		.amdhsa_float_round_mode_32 0
		.amdhsa_float_round_mode_16_64 0
		.amdhsa_float_denorm_mode_32 3
		.amdhsa_float_denorm_mode_16_64 3
		.amdhsa_dx10_clamp 1
		.amdhsa_ieee_mode 1
		.amdhsa_fp16_overflow 0
		.amdhsa_workgroup_processor_mode 1
		.amdhsa_memory_ordered 1
		.amdhsa_forward_progress 0
		.amdhsa_shared_vgpr_count 0
		.amdhsa_exception_fp_ieee_invalid_op 0
		.amdhsa_exception_fp_denorm_src 0
		.amdhsa_exception_fp_ieee_div_zero 0
		.amdhsa_exception_fp_ieee_overflow 0
		.amdhsa_exception_fp_ieee_underflow 0
		.amdhsa_exception_fp_ieee_inexact 0
		.amdhsa_exception_int_div_zero 0
	.end_amdhsa_kernel
	.text
.Lfunc_end0:
	.size	fft_rtc_fwd_len1287_factors_3_13_3_11_wgs_117_tpt_117_sp_op_CI_CI_unitstride_sbrr_dirReg, .Lfunc_end0-fft_rtc_fwd_len1287_factors_3_13_3_11_wgs_117_tpt_117_sp_op_CI_CI_unitstride_sbrr_dirReg
                                        ; -- End function
	.section	.AMDGPU.csdata,"",@progbits
; Kernel info:
; codeLenInByte = 9228
; NumSgprs: 29
; NumVgprs: 139
; ScratchSize: 0
; MemoryBound: 0
; FloatMode: 240
; IeeeMode: 1
; LDSByteSize: 0 bytes/workgroup (compile time only)
; SGPRBlocks: 3
; VGPRBlocks: 17
; NumSGPRsForWavesPerEU: 29
; NumVGPRsForWavesPerEU: 139
; Occupancy: 7
; WaveLimiterHint : 1
; COMPUTE_PGM_RSRC2:SCRATCH_EN: 0
; COMPUTE_PGM_RSRC2:USER_SGPR: 6
; COMPUTE_PGM_RSRC2:TRAP_HANDLER: 0
; COMPUTE_PGM_RSRC2:TGID_X_EN: 1
; COMPUTE_PGM_RSRC2:TGID_Y_EN: 0
; COMPUTE_PGM_RSRC2:TGID_Z_EN: 0
; COMPUTE_PGM_RSRC2:TIDIG_COMP_CNT: 0
	.text
	.p2alignl 6, 3214868480
	.fill 48, 4, 3214868480
	.type	__hip_cuid_9293431b95d6a399,@object ; @__hip_cuid_9293431b95d6a399
	.section	.bss,"aw",@nobits
	.globl	__hip_cuid_9293431b95d6a399
__hip_cuid_9293431b95d6a399:
	.byte	0                               ; 0x0
	.size	__hip_cuid_9293431b95d6a399, 1

	.ident	"AMD clang version 19.0.0git (https://github.com/RadeonOpenCompute/llvm-project roc-6.4.0 25133 c7fe45cf4b819c5991fe208aaa96edf142730f1d)"
	.section	".note.GNU-stack","",@progbits
	.addrsig
	.addrsig_sym __hip_cuid_9293431b95d6a399
	.amdgpu_metadata
---
amdhsa.kernels:
  - .args:
      - .actual_access:  read_only
        .address_space:  global
        .offset:         0
        .size:           8
        .value_kind:     global_buffer
      - .offset:         8
        .size:           8
        .value_kind:     by_value
      - .actual_access:  read_only
        .address_space:  global
        .offset:         16
        .size:           8
        .value_kind:     global_buffer
      - .actual_access:  read_only
        .address_space:  global
        .offset:         24
        .size:           8
        .value_kind:     global_buffer
      - .actual_access:  read_only
        .address_space:  global
        .offset:         32
        .size:           8
        .value_kind:     global_buffer
      - .offset:         40
        .size:           8
        .value_kind:     by_value
      - .actual_access:  read_only
        .address_space:  global
        .offset:         48
        .size:           8
        .value_kind:     global_buffer
      - .actual_access:  read_only
        .address_space:  global
        .offset:         56
        .size:           8
        .value_kind:     global_buffer
      - .offset:         64
        .size:           4
        .value_kind:     by_value
      - .actual_access:  read_only
        .address_space:  global
        .offset:         72
        .size:           8
        .value_kind:     global_buffer
      - .actual_access:  read_only
        .address_space:  global
        .offset:         80
        .size:           8
        .value_kind:     global_buffer
      - .actual_access:  read_only
        .address_space:  global
        .offset:         88
        .size:           8
        .value_kind:     global_buffer
      - .actual_access:  write_only
        .address_space:  global
        .offset:         96
        .size:           8
        .value_kind:     global_buffer
    .group_segment_fixed_size: 0
    .kernarg_segment_align: 8
    .kernarg_segment_size: 104
    .language:       OpenCL C
    .language_version:
      - 2
      - 0
    .max_flat_workgroup_size: 117
    .name:           fft_rtc_fwd_len1287_factors_3_13_3_11_wgs_117_tpt_117_sp_op_CI_CI_unitstride_sbrr_dirReg
    .private_segment_fixed_size: 0
    .sgpr_count:     29
    .sgpr_spill_count: 0
    .symbol:         fft_rtc_fwd_len1287_factors_3_13_3_11_wgs_117_tpt_117_sp_op_CI_CI_unitstride_sbrr_dirReg.kd
    .uniform_work_group_size: 1
    .uses_dynamic_stack: false
    .vgpr_count:     139
    .vgpr_spill_count: 0
    .wavefront_size: 32
    .workgroup_processor_mode: 1
amdhsa.target:   amdgcn-amd-amdhsa--gfx1030
amdhsa.version:
  - 1
  - 2
...

	.end_amdgpu_metadata
